;; amdgpu-corpus repo=zjin-lcf/HeCBench kind=compiled arch=gfx1250 opt=O3
	.amdgcn_target "amdgcn-amd-amdhsa--gfx1250"
	.amdhsa_code_object_version 6
	.text
	.protected	_Z6perlinii11NoiseParamsPh ; -- Begin function _Z6perlinii11NoiseParamsPh
	.globl	_Z6perlinii11NoiseParamsPh
	.p2align	8
	.type	_Z6perlinii11NoiseParamsPh,@function
_Z6perlinii11NoiseParamsPh:             ; @_Z6perlinii11NoiseParamsPh
; %bb.0:
	s_clause 0x1
	s_load_b32 s4, s[0:1], 0x34
	s_load_b64 s[2:3], s[0:1], 0x0
	s_bfe_u32 s6, ttmp6, 0x4000c
	s_bfe_u32 s7, ttmp6, 0x40010
	s_add_co_i32 s6, s6, 1
	s_add_co_i32 s7, s7, 1
	s_and_b32 s5, ttmp6, 15
	s_bfe_u32 s8, ttmp6, 0x40004
	s_mul_i32 s6, ttmp9, s6
	s_mul_i32 s7, ttmp7, s7
	s_getreg_b32 s9, hwreg(HW_REG_IB_STS2, 6, 4)
	v_and_b32_e32 v1, 0x3ff, v0
	s_add_co_i32 s5, s5, s6
	s_add_co_i32 s8, s8, s7
	v_bfe_u32 v0, v0, 10, 10
	s_wait_kmcnt 0x0
	s_and_b32 s6, s4, 0xffff
	s_lshr_b32 s4, s4, 16
	s_cmp_eq_u32 s9, 0
	s_cselect_b32 s5, ttmp9, s5
	s_delay_alu instid0(SALU_CYCLE_1) | instskip(SKIP_1) | instid1(SALU_CYCLE_1)
	v_mad_u32 v2, s5, s6, v1
	s_cselect_b32 s5, ttmp7, s8
	s_mul_i32 s5, s5, s4
	s_delay_alu instid0(SALU_CYCLE_1)
	v_add3_u32 v10, s5, s2, v0
	s_add_co_i32 s2, s3, s2
	s_delay_alu instid0(VALU_DEP_1) | instid1(SALU_CYCLE_1)
	v_cmp_gt_u32_e64 s2, s2, v10
	s_delay_alu instid0(VALU_DEP_3) | instskip(SKIP_1) | instid1(SALU_CYCLE_1)
	v_cmp_gt_u32_e32 vcc_lo, 0xf000, v2
	s_and_b32 s2, vcc_lo, s2
	s_and_saveexec_b32 s3, s2
	s_cbranch_execz .LBB0_5
; %bb.1:
	s_clause 0x1
	s_load_b32 s8, s[0:1], 0x8
	s_load_b128 s[4:7], s[0:1], 0xc
	v_cvt_f32_u32_e32 v1, v10
	v_cvt_f32_u32_e32 v0, v2
	s_get_pc_i64 s[10:11]
	s_add_nc_u64 s[10:11], s[10:11], _ZL9gradientY@rel64+4
	s_mov_b32 s12, 0x40c00000
	s_wait_kmcnt 0x0
	v_div_scale_f32 v3, null, s8, s8, v1
	v_div_scale_f32 v4, null, s8, s8, v0
	v_div_scale_f32 v9, vcc_lo, v1, s8, v1
	s_delay_alu instid0(VALU_DEP_3) | instskip(NEXT) | instid1(VALU_DEP_2)
	v_rcp_f32_e32 v5, v3
	v_rcp_f32_e32 v6, v4
	s_cmp_lt_i32 s5, 2
	s_delay_alu instid0(TRANS32_DEP_2) | instskip(NEXT) | instid1(TRANS32_DEP_1)
	v_fma_f32 v7, -v3, v5, 1.0
	v_fma_f32 v8, -v4, v6, 1.0
	s_delay_alu instid0(VALU_DEP_1) | instskip(SKIP_1) | instid1(VALU_DEP_1)
	v_dual_fmac_f32 v5, v7, v5 :: v_dual_fmac_f32 v6, v8, v6
	v_div_scale_f32 v7, s2, v0, s8, v0
	v_dual_mul_f32 v8, v9, v5 :: v_dual_mul_f32 v11, v7, v6
	s_delay_alu instid0(VALU_DEP_1) | instskip(NEXT) | instid1(VALU_DEP_1)
	v_dual_fma_f32 v12, -v3, v8, v9 :: v_dual_fma_f32 v13, -v4, v11, v7
	v_dual_fmac_f32 v8, v12, v5 :: v_dual_fmac_f32 v11, v13, v6
	s_delay_alu instid0(VALU_DEP_1) | instskip(NEXT) | instid1(VALU_DEP_1)
	v_dual_fma_f32 v3, -v3, v8, v9 :: v_dual_fma_f32 v4, -v4, v11, v7
	v_div_fmas_f32 v3, v3, v5, v8
	s_mov_b32 vcc_lo, s2
	s_get_pc_i64 s[2:3]
	s_add_nc_u64 s[2:3], s[2:3], _ZL5_hash@rel64+4
	v_div_fmas_f32 v4, v4, v6, v11
	v_div_fixup_f32 v1, v3, s8, v1
	s_delay_alu instid0(VALU_DEP_2) | instskip(SKIP_2) | instid1(VALU_DEP_2)
	v_div_fixup_f32 v0, v4, s8, v0
	s_get_pc_i64 s[8:9]
	s_add_nc_u64 s[8:9], s[8:9], _ZL9gradientX@rel64+4
	v_cvt_i32_f32_e32 v3, v1
	s_delay_alu instid0(VALU_DEP_2) | instskip(NEXT) | instid1(VALU_DEP_1)
	v_cvt_i32_f32_e32 v5, v0
	v_add_nc_u32_e32 v4, 1, v5
	v_and_b32_e32 v6, 0xff, v5
	s_delay_alu instid0(VALU_DEP_2)
	v_and_b32_e32 v4, 0xff, v4
	s_clause 0x1
	global_load_b32 v7, v6, s[2:3] scale_offset
	global_load_b32 v8, v4, s[2:3] scale_offset
	s_wait_xcnt 0x1
	v_and_b32_e32 v6, 0xff, v3
	s_wait_xcnt 0x0
	v_add_nc_u32_e32 v4, 1, v3
	s_wait_loadcnt 0x0
	s_delay_alu instid0(VALU_DEP_2) | instskip(NEXT) | instid1(VALU_DEP_2)
	v_dual_add_nc_u32 v9, v6, v7 :: v_dual_add_nc_u32 v6, v6, v8
	v_and_b32_e32 v4, 0xff, v4
	s_delay_alu instid0(VALU_DEP_1)
	v_dual_add_nc_u32 v7, v4, v7 :: v_dual_add_nc_u32 v4, v4, v8
	s_clause 0x3
	global_load_b32 v8, v9, s[2:3] scale_offset
	global_load_b32 v11, v7, s[2:3] scale_offset
	;; [unrolled: 1-line block ×4, first 2 shown]
	s_wait_loadcnt 0x2
	s_wait_xcnt 0x0
	v_dual_add_nc_u32 v4, s4, v8 :: v_dual_add_nc_u32 v6, s4, v11
	s_wait_loadcnt 0x0
	v_dual_add_nc_u32 v7, s4, v12 :: v_dual_add_nc_u32 v8, s4, v13
	s_delay_alu instid0(VALU_DEP_2) | instskip(NEXT) | instid1(VALU_DEP_2)
	v_dual_ashrrev_i32 v9, 31, v4 :: v_dual_ashrrev_i32 v11, 31, v6
	v_dual_ashrrev_i32 v12, 31, v7 :: v_dual_ashrrev_i32 v13, 31, v8
	s_delay_alu instid0(VALU_DEP_2) | instskip(NEXT) | instid1(VALU_DEP_2)
	v_dual_lshrrev_b32 v9, 29, v9 :: v_dual_lshrrev_b32 v11, 29, v11
	v_dual_lshrrev_b32 v12, 29, v12 :: v_dual_lshrrev_b32 v13, 29, v13
	s_delay_alu instid0(VALU_DEP_2) | instskip(NEXT) | instid1(VALU_DEP_2)
	v_dual_add_nc_u32 v9, v4, v9 :: v_dual_add_nc_u32 v11, v6, v11
	v_dual_add_nc_u32 v12, v7, v12 :: v_dual_add_nc_u32 v13, v8, v13
	s_delay_alu instid0(VALU_DEP_2) | instskip(NEXT) | instid1(VALU_DEP_3)
	v_and_b32_e32 v11, -8, v11
	v_and_b32_e32 v9, -8, v9
	s_delay_alu instid0(VALU_DEP_3) | instskip(NEXT) | instid1(VALU_DEP_3)
	v_and_b32_e32 v13, -8, v13
	v_dual_sub_nc_u32 v11, v6, v11 :: v_dual_bitop2_b32 v12, -8, v12 bitop3:0x40
	s_delay_alu instid0(VALU_DEP_3) | instskip(NEXT) | instid1(VALU_DEP_2)
	v_sub_nc_u32_e32 v14, v4, v9
	v_dual_sub_nc_u32 v15, v8, v13 :: v_dual_sub_nc_u32 v7, v7, v12
	s_clause 0x2
	global_load_b32 v4, v14, s[8:9] scale_offset
	global_load_b32 v6, v11, s[8:9] scale_offset
	global_load_b32 v9, v7, s[8:9] scale_offset
	s_clause 0x1
	global_load_b32 v8, v15, s[10:11] scale_offset
	global_load_b32 v12, v15, s[8:9] scale_offset
	s_clause 0x2
	global_load_b32 v20, v14, s[10:11] scale_offset
	global_load_b32 v21, v11, s[10:11] scale_offset
	global_load_b32 v13, v7, s[10:11] scale_offset
	s_wait_xcnt 0x3
	v_cvt_f32_i32_e32 v15, v3
	s_wait_xcnt 0x2
	v_cvt_f32_i32_e32 v14, v5
	s_delay_alu instid0(VALU_DEP_1) | instskip(NEXT) | instid1(VALU_DEP_1)
	v_pk_add_f32 v[14:15], v[0:1], v[14:15] neg_lo:[0,1] neg_hi:[0,1]
	v_pk_mul_f32 v[16:17], v[14:15], v[14:15]
	v_pk_add_f32 v[18:19], v[14:15], -1.0 op_sel_hi:[1,0]
	v_dual_mov_b32 v5, v14 :: v_dual_mov_b32 v16, v15
	s_wait_xcnt 0x0
	s_delay_alu instid0(VALU_DEP_2) | instskip(SKIP_1) | instid1(VALU_DEP_2)
	v_dual_mov_b32 v7, v17 :: v_dual_mov_b32 v17, v18
	s_wait_loadcnt 0x7
	v_pk_mul_f32 v[4:5], v[14:15], v[4:5] op_sel_hi:[0,1]
	v_fmaak_f32 v3, s12, v15, 0xc1700000
	s_wait_loadcnt 0x6
	v_pk_mul_f32 v[6:7], v[14:15], v[6:7]
	s_wait_loadcnt 0x4
	v_pk_mul_f32 v[8:9], v[16:17], v[8:9]
	v_pk_mul_f32 v[16:17], v[4:5], v[14:15] op_sel_hi:[1,0]
	s_wait_loadcnt 0x2
	v_fmac_f32_e32 v4, v15, v20
	s_wait_loadcnt 0x1
	v_fmac_f32_e32 v6, v19, v21
	s_wait_loadcnt 0x0
	v_pk_fma_f32 v[8:9], v[18:19], v[12:13], v[8:9]
	v_fmaak_f32 v3, v15, v3, 0x41200000
	s_delay_alu instid0(VALU_DEP_3) | instskip(NEXT) | instid1(VALU_DEP_2)
	v_sub_f32_e32 v5, v6, v4
	v_dual_sub_f32 v6, v9, v8 :: v_dual_mul_f32 v3, v7, v3
	v_fmaak_f32 v7, s12, v14, 0xc1700000
	s_delay_alu instid0(VALU_DEP_2) | instskip(NEXT) | instid1(VALU_DEP_2)
	v_fmac_f32_e32 v8, v3, v6
	v_dual_fmac_f32 v4, v3, v5 :: v_dual_fmaak_f32 v3, v14, v7, 0x41200000
	s_delay_alu instid0(VALU_DEP_1) | instskip(NEXT) | instid1(VALU_DEP_1)
	v_dual_sub_f32 v5, v8, v4 :: v_dual_mul_f32 v3, v17, v3
	v_fmac_f32_e32 v4, v3, v5
	s_delay_alu instid0(VALU_DEP_1) | instskip(NEXT) | instid1(VALU_DEP_1)
	v_cvt_f64_f32_e32 v[4:5], v4
	v_add_f64_e32 v[4:5], 1.0, v[4:5]
	s_delay_alu instid0(VALU_DEP_1) | instskip(NEXT) | instid1(VALU_DEP_1)
	v_mul_f64_e32 v[4:5], 0.5, v[4:5]
	v_cvt_f32_f64_e32 v4, v[4:5]
	v_mov_b32_e32 v5, 1.0
	s_cbranch_scc1 .LBB0_4
; %bb.2:
	v_mov_b64_e32 v[8:9], s[6:7]
	v_dual_mov_b32 v5, 1.0 :: v_dual_mov_b32 v6, 1.0
	v_mov_b32_e32 v7, 1.0
	s_add_co_i32 s5, s5, -1
.LBB0_3:                                ; =>This Inner Loop Header: Depth=1
	s_delay_alu instid0(VALU_DEP_1) | instskip(SKIP_1) | instid1(SALU_CYCLE_1)
	v_pk_mul_f32 v[6:7], v[8:9], v[6:7]
	s_add_co_i32 s5, s5, -1
	s_cmp_lg_u32 s5, 0
	s_delay_alu instid0(VALU_DEP_1) | instskip(NEXT) | instid1(VALU_DEP_1)
	v_pk_mul_f32 v[12:13], v[0:1], v[6:7] op_sel_hi:[1,0]
	v_cvt_i32_f32_e32 v3, v12
	s_delay_alu instid0(VALU_DEP_1) | instskip(SKIP_1) | instid1(VALU_DEP_2)
	v_add_nc_u32_e32 v11, 1, v3
	v_and_b32_e32 v12, 0xff, v3
	v_and_b32_e32 v11, 0xff, v11
	s_clause 0x1
	global_load_b32 v14, v12, s[2:3] scale_offset
	global_load_b32 v15, v11, s[2:3] scale_offset
	s_wait_xcnt 0x0
	v_cvt_i32_f32_e32 v11, v13
	s_delay_alu instid0(VALU_DEP_1) | instskip(SKIP_1) | instid1(VALU_DEP_2)
	v_add_nc_u32_e32 v12, 1, v11
	v_and_b32_e32 v13, 0xff, v11
	v_and_b32_e32 v12, 0xff, v12
	s_wait_loadcnt 0x0
	s_delay_alu instid0(VALU_DEP_2) | instskip(NEXT) | instid1(VALU_DEP_2)
	v_dual_add_nc_u32 v16, v13, v14 :: v_dual_add_nc_u32 v13, v13, v15
	v_dual_add_nc_u32 v15, v12, v15 :: v_dual_add_nc_u32 v12, v12, v14
	s_clause 0x3
	global_load_b32 v14, v16, s[2:3] scale_offset
	global_load_b32 v17, v13, s[2:3] scale_offset
	;; [unrolled: 1-line block ×4, first 2 shown]
	s_wait_loadcnt 0x2
	s_wait_xcnt 0x0
	v_dual_add_nc_u32 v13, s4, v17 :: v_dual_add_nc_u32 v12, s4, v14
	s_wait_loadcnt 0x0
	s_delay_alu instid0(VALU_DEP_1) | instskip(NEXT) | instid1(VALU_DEP_2)
	v_dual_add_nc_u32 v15, s4, v19 :: v_dual_ashrrev_i32 v17, 31, v13
	v_dual_add_nc_u32 v14, s4, v18 :: v_dual_ashrrev_i32 v16, 31, v12
	s_delay_alu instid0(VALU_DEP_2) | instskip(NEXT) | instid1(VALU_DEP_2)
	v_dual_ashrrev_i32 v19, 31, v15 :: v_dual_lshrrev_b32 v17, 29, v17
	v_dual_ashrrev_i32 v18, 31, v14 :: v_dual_lshrrev_b32 v16, 29, v16
	s_delay_alu instid0(VALU_DEP_2) | instskip(NEXT) | instid1(VALU_DEP_2)
	v_dual_lshrrev_b32 v19, 29, v19 :: v_dual_add_nc_u32 v17, v13, v17
	v_dual_lshrrev_b32 v18, 29, v18 :: v_dual_add_nc_u32 v16, v12, v16
	s_delay_alu instid0(VALU_DEP_2) | instskip(NEXT) | instid1(VALU_DEP_2)
	v_dual_add_nc_u32 v19, v15, v19 :: v_dual_bitop2_b32 v17, -8, v17 bitop3:0x40
	v_dual_add_nc_u32 v18, v14, v18 :: v_dual_bitop2_b32 v16, -8, v16 bitop3:0x40
	s_delay_alu instid0(VALU_DEP_2) | instskip(NEXT) | instid1(VALU_DEP_2)
	v_dual_sub_nc_u32 v13, v13, v17 :: v_dual_bitop2_b32 v19, -8, v19 bitop3:0x40
	v_dual_sub_nc_u32 v20, v12, v16 :: v_dual_bitop2_b32 v18, -8, v18 bitop3:0x40
	s_delay_alu instid0(VALU_DEP_1)
	v_dual_sub_nc_u32 v21, v15, v19 :: v_dual_sub_nc_u32 v17, v14, v18
	global_load_b32 v12, v20, s[8:9] scale_offset
	global_load_b32 v14, v13, s[10:11] scale_offset
	s_clause 0x2
	global_load_b32 v15, v17, s[8:9] scale_offset
	global_load_b32 v16, v21, s[8:9] scale_offset
	global_load_b32 v18, v13, s[8:9] scale_offset
	s_clause 0x2
	global_load_b32 v28, v20, s[10:11] scale_offset
	global_load_b32 v19, v17, s[10:11] scale_offset
	;; [unrolled: 1-line block ×3, first 2 shown]
	s_wait_xcnt 0x0
	v_cvt_f32_i32_e32 v21, v11
	v_cvt_f32_i32_e32 v20, v3
	s_delay_alu instid0(VALU_DEP_1) | instskip(NEXT) | instid1(VALU_DEP_1)
	v_pk_fma_f32 v[20:21], v[0:1], v[6:7], v[20:21] op_sel_hi:[1,0,1] neg_lo:[0,0,1] neg_hi:[0,0,1]
	v_pk_add_f32 v[22:23], v[20:21], -1.0 op_sel_hi:[1,0]
	v_pk_mul_f32 v[24:25], v[20:21], v[20:21]
	v_dual_mov_b32 v13, v20 :: v_dual_mov_b32 v26, v21
	s_delay_alu instid0(VALU_DEP_2) | instskip(SKIP_1) | instid1(VALU_DEP_2)
	v_dual_mov_b32 v27, v22 :: v_dual_mov_b32 v17, v25
	s_wait_loadcnt 0x7
	v_pk_mul_f32 v[12:13], v[20:21], v[12:13] op_sel_hi:[0,1]
	v_fmaak_f32 v3, s12, v21, 0xc1700000
	s_wait_loadcnt 0x5
	v_pk_mul_f32 v[14:15], v[26:27], v[14:15]
	s_wait_loadcnt 0x4
	v_pk_mul_f32 v[16:17], v[20:21], v[16:17]
	v_pk_mul_f32 v[24:25], v[12:13], v[20:21] op_sel_hi:[1,0]
	s_wait_loadcnt 0x2
	v_dual_fmac_f32 v12, v21, v28 :: v_dual_fmaak_f32 v3, v21, v3, 0x41200000
	s_wait_loadcnt 0x0
	v_fmac_f32_e32 v16, v23, v29
	v_pk_fma_f32 v[14:15], v[22:23], v[18:19], v[14:15]
	s_delay_alu instid0(VALU_DEP_1) | instskip(NEXT) | instid1(VALU_DEP_1)
	v_dual_mul_f32 v3, v17, v3 :: v_dual_sub_f32 v13, v15, v14
	v_dual_fmaak_f32 v11, s12, v20, 0xc1700000 :: v_dual_fmac_f32 v14, v3, v13
	s_delay_alu instid0(VALU_DEP_1) | instskip(SKIP_1) | instid1(VALU_DEP_1)
	v_fmaak_f32 v11, v20, v11, 0x41200000
	v_sub_f32_e32 v15, v16, v12
	v_fmac_f32_e32 v12, v3, v15
	s_delay_alu instid0(VALU_DEP_1) | instskip(NEXT) | instid1(VALU_DEP_1)
	v_dual_mul_f32 v3, v25, v11 :: v_dual_sub_f32 v11, v14, v12
	v_fmac_f32_e32 v12, v3, v11
	s_delay_alu instid0(VALU_DEP_1) | instskip(NEXT) | instid1(VALU_DEP_1)
	v_cvt_f64_f32_e32 v[12:13], v12
	v_add_f64_e32 v[12:13], 1.0, v[12:13]
	s_delay_alu instid0(VALU_DEP_1) | instskip(NEXT) | instid1(VALU_DEP_1)
	v_mul_f64_e32 v[12:13], 0.5, v[12:13]
	v_cvt_f32_f64_e32 v3, v[12:13]
	s_delay_alu instid0(VALU_DEP_1) | instskip(NEXT) | instid1(VALU_DEP_1)
	v_dual_mov_b32 v13, v7 :: v_dual_mul_f32 v12, v7, v3
	v_pk_add_f32 v[4:5], v[4:5], v[12:13]
	s_cbranch_scc1 .LBB0_3
.LBB0_4:
	s_delay_alu instid0(VALU_DEP_1) | instskip(SKIP_4) | instid1(TRANS32_DEP_1)
	v_div_scale_f32 v0, null, v5, v5, v4
	v_div_scale_f32 v6, vcc_lo, v4, v5, v4
	s_load_b64 s[0:1], s[0:1], 0x20
	v_rcp_f32_e32 v1, v0
	v_nop
	v_fma_f32 v3, -v0, v1, 1.0
	s_delay_alu instid0(VALU_DEP_1) | instskip(NEXT) | instid1(VALU_DEP_1)
	v_fmac_f32_e32 v1, v3, v1
	v_mul_f32_e32 v3, v6, v1
	s_delay_alu instid0(VALU_DEP_1) | instskip(NEXT) | instid1(VALU_DEP_1)
	v_fma_f32 v7, -v0, v3, v6
	v_fmac_f32_e32 v3, v7, v1
	s_delay_alu instid0(VALU_DEP_1) | instskip(NEXT) | instid1(VALU_DEP_1)
	v_fma_f32 v0, -v0, v3, v6
	v_div_fmas_f32 v0, v0, v1, v3
	v_mov_b32_e32 v3, 0
	s_delay_alu instid0(VALU_DEP_2) | instskip(NEXT) | instid1(VALU_DEP_1)
	v_div_fixup_f32 v0, v0, v5, v4
	v_mul_f32_e32 v0, 0x437f0000, v0
	s_delay_alu instid0(VALU_DEP_1) | instskip(NEXT) | instid1(VALU_DEP_4)
	v_cvt_i32_f32_e32 v4, v0
	v_mad_nc_u64_u32 v[0:1], 0xf000, v10, v[2:3]
	s_delay_alu instid0(VALU_DEP_2) | instskip(SKIP_1) | instid1(VALU_DEP_1)
	v_lshlrev_b16 v5, 8, v4
	v_or_b32_e32 v3, 0xffffff00, v4
	v_dual_lshlrev_b32 v3, 16, v3 :: v_dual_bitop2_b32 v2, v4, v5 bitop3:0x54
	s_wait_kmcnt 0x0
	s_delay_alu instid0(VALU_DEP_4) | instskip(NEXT) | instid1(VALU_DEP_2)
	v_lshl_add_u64 v[0:1], v[0:1], 2, s[0:1]
	v_and_b32_e32 v2, 0xffff, v2
	s_delay_alu instid0(VALU_DEP_1)
	v_or_b32_e32 v2, v2, v3
	global_store_b32 v[0:1], v2, off
.LBB0_5:
	s_endpgm
	.section	.rodata,"a",@progbits
	.p2align	6, 0x0
	.amdhsa_kernel _Z6perlinii11NoiseParamsPh
		.amdhsa_group_segment_fixed_size 0
		.amdhsa_private_segment_fixed_size 0
		.amdhsa_kernarg_size 296
		.amdhsa_user_sgpr_count 2
		.amdhsa_user_sgpr_dispatch_ptr 0
		.amdhsa_user_sgpr_queue_ptr 0
		.amdhsa_user_sgpr_kernarg_segment_ptr 1
		.amdhsa_user_sgpr_dispatch_id 0
		.amdhsa_user_sgpr_kernarg_preload_length 0
		.amdhsa_user_sgpr_kernarg_preload_offset 0
		.amdhsa_user_sgpr_private_segment_size 0
		.amdhsa_wavefront_size32 1
		.amdhsa_uses_dynamic_stack 0
		.amdhsa_enable_private_segment 0
		.amdhsa_system_sgpr_workgroup_id_x 1
		.amdhsa_system_sgpr_workgroup_id_y 1
		.amdhsa_system_sgpr_workgroup_id_z 0
		.amdhsa_system_sgpr_workgroup_info 0
		.amdhsa_system_vgpr_workitem_id 1
		.amdhsa_next_free_vgpr 30
		.amdhsa_next_free_sgpr 13
		.amdhsa_named_barrier_count 0
		.amdhsa_reserve_vcc 1
		.amdhsa_float_round_mode_32 0
		.amdhsa_float_round_mode_16_64 0
		.amdhsa_float_denorm_mode_32 3
		.amdhsa_float_denorm_mode_16_64 3
		.amdhsa_fp16_overflow 0
		.amdhsa_memory_ordered 1
		.amdhsa_forward_progress 1
		.amdhsa_inst_pref_size 17
		.amdhsa_round_robin_scheduling 0
		.amdhsa_exception_fp_ieee_invalid_op 0
		.amdhsa_exception_fp_denorm_src 0
		.amdhsa_exception_fp_ieee_div_zero 0
		.amdhsa_exception_fp_ieee_overflow 0
		.amdhsa_exception_fp_ieee_underflow 0
		.amdhsa_exception_fp_ieee_inexact 0
		.amdhsa_exception_int_div_zero 0
	.end_amdhsa_kernel
	.text
.Lfunc_end0:
	.size	_Z6perlinii11NoiseParamsPh, .Lfunc_end0-_Z6perlinii11NoiseParamsPh
                                        ; -- End function
	.set _Z6perlinii11NoiseParamsPh.num_vgpr, 30
	.set _Z6perlinii11NoiseParamsPh.num_agpr, 0
	.set _Z6perlinii11NoiseParamsPh.numbered_sgpr, 13
	.set _Z6perlinii11NoiseParamsPh.num_named_barrier, 0
	.set _Z6perlinii11NoiseParamsPh.private_seg_size, 0
	.set _Z6perlinii11NoiseParamsPh.uses_vcc, 1
	.set _Z6perlinii11NoiseParamsPh.uses_flat_scratch, 0
	.set _Z6perlinii11NoiseParamsPh.has_dyn_sized_stack, 0
	.set _Z6perlinii11NoiseParamsPh.has_recursion, 0
	.set _Z6perlinii11NoiseParamsPh.has_indirect_call, 0
	.section	.AMDGPU.csdata,"",@progbits
; Kernel info:
; codeLenInByte = 2148
; TotalNumSgprs: 15
; NumVgprs: 30
; ScratchSize: 0
; MemoryBound: 0
; FloatMode: 240
; IeeeMode: 1
; LDSByteSize: 0 bytes/workgroup (compile time only)
; SGPRBlocks: 0
; VGPRBlocks: 1
; NumSGPRsForWavesPerEU: 15
; NumVGPRsForWavesPerEU: 30
; NamedBarCnt: 0
; Occupancy: 16
; WaveLimiterHint : 0
; COMPUTE_PGM_RSRC2:SCRATCH_EN: 0
; COMPUTE_PGM_RSRC2:USER_SGPR: 2
; COMPUTE_PGM_RSRC2:TRAP_HANDLER: 0
; COMPUTE_PGM_RSRC2:TGID_X_EN: 1
; COMPUTE_PGM_RSRC2:TGID_Y_EN: 1
; COMPUTE_PGM_RSRC2:TGID_Z_EN: 0
; COMPUTE_PGM_RSRC2:TIDIG_COMP_CNT: 1
	.text
	.p2alignl 7, 3214868480
	.fill 96, 4, 3214868480
	.section	.AMDGPU.gpr_maximums,"",@progbits
	.set amdgpu.max_num_vgpr, 0
	.set amdgpu.max_num_agpr, 0
	.set amdgpu.max_num_sgpr, 0
	.text
	.type	_ZL5_hash,@object               ; @_ZL5_hash
	.section	.rodata,"a",@progbits
	.p2align	4, 0x0
_ZL5_hash:
	.long	151                             ; 0x97
	.long	160                             ; 0xa0
	;; [unrolled: 1-line block ×3, first 2 shown]
	.long	91                              ; 0x5b
	.long	90                              ; 0x5a
	;; [unrolled: 1-line block ×3, first 2 shown]
	.long	131                             ; 0x83
	.long	13                              ; 0xd
	.long	201                             ; 0xc9
	.long	95                              ; 0x5f
	.long	96                              ; 0x60
	;; [unrolled: 1-line block ×3, first 2 shown]
	.long	194                             ; 0xc2
	.long	233                             ; 0xe9
	.long	7                               ; 0x7
	.long	225                             ; 0xe1
	.long	140                             ; 0x8c
	.long	36                              ; 0x24
	.long	103                             ; 0x67
	.long	30                              ; 0x1e
	.long	69                              ; 0x45
	.long	142                             ; 0x8e
	.long	8                               ; 0x8
	.long	99                              ; 0x63
	.long	37                              ; 0x25
	.long	240                             ; 0xf0
	.long	21                              ; 0x15
	.long	10                              ; 0xa
	;; [unrolled: 1-line block ×3, first 2 shown]
	.long	190                             ; 0xbe
	.long	6                               ; 0x6
	.long	148                             ; 0x94
	.long	247                             ; 0xf7
	;; [unrolled: 1-line block ×4, first 2 shown]
	.long	75                              ; 0x4b
	.long	0                               ; 0x0
	.long	26                              ; 0x1a
	.long	197                             ; 0xc5
	.long	62                              ; 0x3e
	.long	94                              ; 0x5e
	.long	252                             ; 0xfc
	.long	219                             ; 0xdb
	;; [unrolled: 1-line block ×4, first 2 shown]
	.long	35                              ; 0x23
	.long	11                              ; 0xb
	;; [unrolled: 1-line block ×4, first 2 shown]
	.long	177                             ; 0xb1
	.long	33                              ; 0x21
	.long	88                              ; 0x58
	.long	237                             ; 0xed
	.long	149                             ; 0x95
	.long	56                              ; 0x38
	.long	87                              ; 0x57
	.long	174                             ; 0xae
	.long	20                              ; 0x14
	.long	125                             ; 0x7d
	.long	136                             ; 0x88
	;; [unrolled: 1-line block ×4, first 2 shown]
	.long	68                              ; 0x44
	.long	175                             ; 0xaf
	.long	74                              ; 0x4a
	.long	165                             ; 0xa5
	;; [unrolled: 2-line block ×3, first 2 shown]
	.long	139                             ; 0x8b
	.long	48                              ; 0x30
	.long	27                              ; 0x1b
	.long	166                             ; 0xa6
	.long	77                              ; 0x4d
	.long	146                             ; 0x92
	.long	158                             ; 0x9e
	.long	231                             ; 0xe7
	.long	83                              ; 0x53
	.long	111                             ; 0x6f
	.long	229                             ; 0xe5
	;; [unrolled: 4-line block ×3, first 2 shown]
	.long	230                             ; 0xe6
	.long	220                             ; 0xdc
	;; [unrolled: 1-line block ×3, first 2 shown]
	.long	92                              ; 0x5c
	.long	41                              ; 0x29
	;; [unrolled: 1-line block ×4, first 2 shown]
	.long	245                             ; 0xf5
	.long	40                              ; 0x28
	.long	244                             ; 0xf4
	.long	102                             ; 0x66
	;; [unrolled: 1-line block ×3, first 2 shown]
	.long	54                              ; 0x36
	.long	65                              ; 0x41
	;; [unrolled: 1-line block ×4, first 2 shown]
	.long	161                             ; 0xa1
	.long	1                               ; 0x1
	.long	216                             ; 0xd8
	.long	80                              ; 0x50
	.long	73                              ; 0x49
	.long	209                             ; 0xd1
	.long	76                              ; 0x4c
	.long	132                             ; 0x84
	.long	187                             ; 0xbb
	;; [unrolled: 1-line block ×3, first 2 shown]
	.long	89                              ; 0x59
	.long	18                              ; 0x12
	.long	169                             ; 0xa9
	.long	200                             ; 0xc8
	;; [unrolled: 1-line block ×8, first 2 shown]
	.long	86                              ; 0x56
	.long	164                             ; 0xa4
	.long	100                             ; 0x64
	.long	109                             ; 0x6d
	.long	198                             ; 0xc6
	.long	173                             ; 0xad
	.long	186                             ; 0xba
	.long	3                               ; 0x3
	.long	64                              ; 0x40
	.long	52                              ; 0x34
	.long	217                             ; 0xd9
	.long	226                             ; 0xe2
	;; [unrolled: 1-line block ×5, first 2 shown]
	.long	5                               ; 0x5
	.long	202                             ; 0xca
	.long	38                              ; 0x26
	.long	147                             ; 0x93
	.long	118                             ; 0x76
	;; [unrolled: 1-line block ×4, first 2 shown]
	.long	82                              ; 0x52
	.long	85                              ; 0x55
	.long	212                             ; 0xd4
	.long	207                             ; 0xcf
	;; [unrolled: 1-line block ×3, first 2 shown]
	.long	59                              ; 0x3b
	.long	227                             ; 0xe3
	.long	47                              ; 0x2f
	.long	16                              ; 0x10
	;; [unrolled: 1-line block ×4, first 2 shown]
	.long	182                             ; 0xb6
	.long	189                             ; 0xbd
	.long	28                              ; 0x1c
	.long	42                              ; 0x2a
	.long	223                             ; 0xdf
	.long	183                             ; 0xb7
	;; [unrolled: 1-line block ×7, first 2 shown]
	.long	2                               ; 0x2
	.long	44                              ; 0x2c
	.long	154                             ; 0x9a
	.long	163                             ; 0xa3
	.long	70                              ; 0x46
	.long	221                             ; 0xdd
	.long	153                             ; 0x99
	;; [unrolled: 1-line block ×5, first 2 shown]
	.long	43                              ; 0x2b
	.long	172                             ; 0xac
	.long	9                               ; 0x9
	.long	129                             ; 0x81
	.long	22                              ; 0x16
	.long	39                              ; 0x27
	.long	253                             ; 0xfd
	.long	19                              ; 0x13
	.long	98                              ; 0x62
	.long	108                             ; 0x6c
	.long	110                             ; 0x6e
	.long	79                              ; 0x4f
	.long	113                             ; 0x71
	.long	224                             ; 0xe0
	;; [unrolled: 1-line block ×9, first 2 shown]
	.long	97                              ; 0x61
	.long	228                             ; 0xe4
	.long	251                             ; 0xfb
	.long	34                              ; 0x22
	.long	242                             ; 0xf2
	.long	193                             ; 0xc1
	;; [unrolled: 1-line block ×5, first 2 shown]
	.long	12                              ; 0xc
	.long	191                             ; 0xbf
	.long	179                             ; 0xb3
	;; [unrolled: 1-line block ×4, first 2 shown]
	.long	81                              ; 0x51
	.long	51                              ; 0x33
	.long	145                             ; 0x91
	.long	235                             ; 0xeb
	;; [unrolled: 1-line block ×3, first 2 shown]
	.long	14                              ; 0xe
	.long	239                             ; 0xef
	.long	107                             ; 0x6b
	.long	49                              ; 0x31
	.long	192                             ; 0xc0
	.long	214                             ; 0xd6
	.long	31                              ; 0x1f
	.long	181                             ; 0xb5
	.long	199                             ; 0xc7
	.long	106                             ; 0x6a
	.long	157                             ; 0x9d
	;; [unrolled: 1-line block ×3, first 2 shown]
	.long	84                              ; 0x54
	.long	204                             ; 0xcc
	.long	176                             ; 0xb0
	;; [unrolled: 1-line block ×4, first 2 shown]
	.long	50                              ; 0x32
	.long	45                              ; 0x2d
	.long	127                             ; 0x7f
	.long	4                               ; 0x4
	.long	150                             ; 0x96
	.long	254                             ; 0xfe
	;; [unrolled: 1-line block ×5, first 2 shown]
	.long	93                              ; 0x5d
	.long	222                             ; 0xde
	.long	114                             ; 0x72
	.long	67                              ; 0x43
	.long	29                              ; 0x1d
	;; [unrolled: 1-line block ×4, first 2 shown]
	.long	243                             ; 0xf3
	.long	141                             ; 0x8d
	;; [unrolled: 1-line block ×4, first 2 shown]
	.long	78                              ; 0x4e
	.long	66                              ; 0x42
	.long	215                             ; 0xd7
	.long	61                              ; 0x3d
	.long	156                             ; 0x9c
	.long	180                             ; 0xb4
	.size	_ZL5_hash, 1024

	.type	_ZL9gradientX,@object           ; @_ZL9gradientX
	.section	.rodata.cst32,"aM",@progbits,32
	.p2align	4, 0x0
_ZL9gradientX:
	.long	0x3f800000                      ; float 1
	.long	0xbf800000                      ; float -1
	.long	0x00000000                      ; float 0
	.long	0x00000000                      ; float 0
	.long	0x3f3504f3                      ; float 0.707106769
	.long	0xbf3504f3                      ; float -0.707106769
	.long	0x3f3504f3                      ; float 0.707106769
	.long	0xbf3504f3                      ; float -0.707106769
	.size	_ZL9gradientX, 32

	.type	_ZL9gradientY,@object           ; @_ZL9gradientY
	.p2align	4, 0x0
_ZL9gradientY:
	.long	0x00000000                      ; float 0
	.long	0x00000000                      ; float 0
	;; [unrolled: 1-line block ×3, first 2 shown]
	.long	0xbf800000                      ; float -1
	.long	0x3f3504f3                      ; float 0.707106769
	.long	0x3f3504f3                      ; float 0.707106769
	.long	0xbf3504f3                      ; float -0.707106769
	.long	0xbf3504f3                      ; float -0.707106769
	.size	_ZL9gradientY, 32

	.type	__hip_cuid_e3e1a08e2e8c421e,@object ; @__hip_cuid_e3e1a08e2e8c421e
	.section	.bss,"aw",@nobits
	.globl	__hip_cuid_e3e1a08e2e8c421e
__hip_cuid_e3e1a08e2e8c421e:
	.byte	0                               ; 0x0
	.size	__hip_cuid_e3e1a08e2e8c421e, 1

	.ident	"AMD clang version 22.0.0git (https://github.com/RadeonOpenCompute/llvm-project roc-7.2.4 26084 f58b06dce1f9c15707c5f808fd002e18c2accf7e)"
	.section	".note.GNU-stack","",@progbits
	.addrsig
	.addrsig_sym __hip_cuid_e3e1a08e2e8c421e
	.amdgpu_metadata
---
amdhsa.kernels:
  - .args:
      - .offset:         0
        .size:           4
        .value_kind:     by_value
      - .offset:         4
        .size:           4
        .value_kind:     by_value
      - .offset:         8
        .size:           20
        .value_kind:     by_value
      - .address_space:  global
        .offset:         32
        .size:           8
        .value_kind:     global_buffer
      - .offset:         40
        .size:           4
        .value_kind:     hidden_block_count_x
      - .offset:         44
        .size:           4
        .value_kind:     hidden_block_count_y
      - .offset:         48
        .size:           4
        .value_kind:     hidden_block_count_z
      - .offset:         52
        .size:           2
        .value_kind:     hidden_group_size_x
      - .offset:         54
        .size:           2
        .value_kind:     hidden_group_size_y
      - .offset:         56
        .size:           2
        .value_kind:     hidden_group_size_z
      - .offset:         58
        .size:           2
        .value_kind:     hidden_remainder_x
      - .offset:         60
        .size:           2
        .value_kind:     hidden_remainder_y
      - .offset:         62
        .size:           2
        .value_kind:     hidden_remainder_z
      - .offset:         80
        .size:           8
        .value_kind:     hidden_global_offset_x
      - .offset:         88
        .size:           8
        .value_kind:     hidden_global_offset_y
      - .offset:         96
        .size:           8
        .value_kind:     hidden_global_offset_z
      - .offset:         104
        .size:           2
        .value_kind:     hidden_grid_dims
    .group_segment_fixed_size: 0
    .kernarg_segment_align: 8
    .kernarg_segment_size: 296
    .language:       OpenCL C
    .language_version:
      - 2
      - 0
    .max_flat_workgroup_size: 1024
    .name:           _Z6perlinii11NoiseParamsPh
    .private_segment_fixed_size: 0
    .sgpr_count:     15
    .sgpr_spill_count: 0
    .symbol:         _Z6perlinii11NoiseParamsPh.kd
    .uniform_work_group_size: 1
    .uses_dynamic_stack: false
    .vgpr_count:     30
    .vgpr_spill_count: 0
    .wavefront_size: 32
amdhsa.target:   amdgcn-amd-amdhsa--gfx1250
amdhsa.version:
  - 1
  - 2
...

	.end_amdgpu_metadata
